;; amdgpu-corpus repo=llvm/llvm-project kind=harvested arch=n/a opt=n/a
// NOTE: Assertions have been autogenerated by utils/update_mc_test_checks.py UTC_ARGS: --unique --version 5
// RUN: llvm-mc -triple=amdgcn -mcpu=gfx1100 -mattr=+real-true16 -show-encoding %s | FileCheck -check-prefix=GCN %s
// RUN: llvm-mc -triple=amdgcn -mcpu=gfx1200 -mattr=+real-true16 -show-encoding %s | FileCheck -check-prefix=GCN %s

v_interp_p10_f32 v0, v1, v2, v3
// GCN: v_interp_p10_f32 v0, v1, v2, v3 wait_exp:0 ; encoding: [0x00,0x00,0x00,0xcd,0x01,0x05,0x0e,0x04]

v_interp_p10_f32 v1, v10, v20, v30
// GCN: v_interp_p10_f32 v1, v10, v20, v30 wait_exp:0 ; encoding: [0x01,0x00,0x00,0xcd,0x0a,0x29,0x7a,0x04]
	;; [unrolled: 3-line block ×4, first 2 shown]

v_interp_p10_f32 v0, v1, v2, v3 clamp
// GCN: v_interp_p10_f32 v0, v1, v2, v3 clamp wait_exp:0 ; encoding: [0x00,0x80,0x00,0xcd,0x01,0x05,0x0e,0x04]

v_interp_p10_f32 v0, -v1, v2, v3
// GCN: v_interp_p10_f32 v0, -v1, v2, v3 wait_exp:0 ; encoding: [0x00,0x00,0x00,0xcd,0x01,0x05,0x0e,0x24]

v_interp_p10_f32 v0, v1, -v2, v3
// GCN: v_interp_p10_f32 v0, v1, -v2, v3 wait_exp:0 ; encoding: [0x00,0x00,0x00,0xcd,0x01,0x05,0x0e,0x44]

v_interp_p10_f32 v0, v1, v2, -v3
// GCN: v_interp_p10_f32 v0, v1, v2, -v3 wait_exp:0 ; encoding: [0x00,0x00,0x00,0xcd,0x01,0x05,0x0e,0x84]

v_interp_p10_f32 v0, v1, v2, v3 wait_exp:0
// GCN: v_interp_p10_f32 v0, v1, v2, v3 wait_exp:0 ; encoding: [0x00,0x00,0x00,0xcd,0x01,0x05,0x0e,0x04]

v_interp_p10_f32 v0, v1, v2, v3 wait_exp:1
// GCN: v_interp_p10_f32 v0, v1, v2, v3 wait_exp:1 ; encoding: [0x00,0x01,0x00,0xcd,0x01,0x05,0x0e,0x04]
	;; [unrolled: 3-line block ×3, first 2 shown]

v_interp_p10_f32 v0, v1, v2, v3 clamp wait_exp:7
// GCN: v_interp_p10_f32 v0, v1, v2, v3 clamp wait_exp:7 ; encoding: [0x00,0x87,0x00,0xcd,0x01,0x05,0x0e,0x04]

v_interp_p2_f32 v0, v1, v2, v3
// GCN: v_interp_p2_f32 v0, v1, v2, v3 wait_exp:0 ; encoding: [0x00,0x00,0x01,0xcd,0x01,0x05,0x0e,0x04]

v_interp_p2_f32 v1, v10, v20, v30
// GCN: v_interp_p2_f32 v1, v10, v20, v30 wait_exp:0 ; encoding: [0x01,0x00,0x01,0xcd,0x0a,0x29,0x7a,0x04]
	;; [unrolled: 3-line block ×4, first 2 shown]

v_interp_p2_f32 v0, v1, v2, v3 clamp
// GCN: v_interp_p2_f32 v0, v1, v2, v3 clamp wait_exp:0 ; encoding: [0x00,0x80,0x01,0xcd,0x01,0x05,0x0e,0x04]

v_interp_p2_f32 v0, -v1, v2, v3
// GCN: v_interp_p2_f32 v0, -v1, v2, v3 wait_exp:0 ; encoding: [0x00,0x00,0x01,0xcd,0x01,0x05,0x0e,0x24]

v_interp_p2_f32 v0, v1, -v2, v3
// GCN: v_interp_p2_f32 v0, v1, -v2, v3 wait_exp:0 ; encoding: [0x00,0x00,0x01,0xcd,0x01,0x05,0x0e,0x44]

v_interp_p2_f32 v0, v1, v2, -v3
// GCN: v_interp_p2_f32 v0, v1, v2, -v3 wait_exp:0 ; encoding: [0x00,0x00,0x01,0xcd,0x01,0x05,0x0e,0x84]

v_interp_p2_f32 v0, v1, v2, v3 wait_exp:0
// GCN: v_interp_p2_f32 v0, v1, v2, v3 wait_exp:0 ; encoding: [0x00,0x00,0x01,0xcd,0x01,0x05,0x0e,0x04]

v_interp_p2_f32 v0, v1, v2, v3 wait_exp:1
// GCN: v_interp_p2_f32 v0, v1, v2, v3 wait_exp:1 ; encoding: [0x00,0x01,0x01,0xcd,0x01,0x05,0x0e,0x04]
	;; [unrolled: 3-line block ×3, first 2 shown]

v_interp_p2_f32 v0, v1, v2, v3 clamp wait_exp:7
// GCN: v_interp_p2_f32 v0, v1, v2, v3 clamp wait_exp:7 ; encoding: [0x00,0x87,0x01,0xcd,0x01,0x05,0x0e,0x04]

v_interp_p10_f16_f32 v0, v1.l, v2, v3.l
// GCN: v_interp_p10_f16_f32 v0, v1.l, v2, v3.l wait_exp:0 ; encoding: [0x00,0x00,0x02,0xcd,0x01,0x05,0x0e,0x04]

v_interp_p10_f16_f32 v0, -v1.l, v2, v3.l
// GCN: v_interp_p10_f16_f32 v0, -v1.l, v2, v3.l wait_exp:0 ; encoding: [0x00,0x00,0x02,0xcd,0x01,0x05,0x0e,0x24]

v_interp_p10_f16_f32 v0, v1.l, -v2, v3.l
// GCN: v_interp_p10_f16_f32 v0, v1.l, -v2, v3.l wait_exp:0 ; encoding: [0x00,0x00,0x02,0xcd,0x01,0x05,0x0e,0x44]

v_interp_p10_f16_f32 v0, v1.l, v2, -v3.l
// GCN: v_interp_p10_f16_f32 v0, v1.l, v2, -v3.l wait_exp:0 ; encoding: [0x00,0x00,0x02,0xcd,0x01,0x05,0x0e,0x84]

v_interp_p10_f16_f32 v0, v1.l, v2, v3.l clamp
// GCN: v_interp_p10_f16_f32 v0, v1.l, v2, v3.l clamp wait_exp:0 ; encoding: [0x00,0x80,0x02,0xcd,0x01,0x05,0x0e,0x04]

v_interp_p10_f16_f32 v0, v1.l, v2, v3.l wait_exp:0
// GCN: v_interp_p10_f16_f32 v0, v1.l, v2, v3.l wait_exp:0 ; encoding: [0x00,0x00,0x02,0xcd,0x01,0x05,0x0e,0x04]

v_interp_p10_f16_f32 v0, v1.l, v2, v3.l wait_exp:1
// GCN: v_interp_p10_f16_f32 v0, v1.l, v2, v3.l wait_exp:1 ; encoding: [0x00,0x01,0x02,0xcd,0x01,0x05,0x0e,0x04]
	;; [unrolled: 3-line block ×3, first 2 shown]

v_interp_p10_f16_f32 v0, v1.h, v2, v3.l
// GCN: v_interp_p10_f16_f32 v0, v1.h, v2, v3.l wait_exp:0 ; encoding: [0x00,0x08,0x02,0xcd,0x01,0x05,0x0e,0x04]

v_interp_p10_f16_f32 v0, v1.l, v2, v3.h
// GCN: v_interp_p10_f16_f32 v0, v1.l, v2, v3.h wait_exp:0 ; encoding: [0x00,0x20,0x02,0xcd,0x01,0x05,0x0e,0x04]

v_interp_p10_f16_f32 v0, v1.h, v2, v3.h clamp wait_exp:5
// GCN: v_interp_p10_f16_f32 v0, v1.h, v2, v3.h clamp wait_exp:5 ; encoding: [0x00,0xad,0x02,0xcd,0x01,0x05,0x0e,0x04]

v_interp_p10_f16_f32 v0, -v1.h, -v2, -v3.h clamp wait_exp:5
// GCN: v_interp_p10_f16_f32 v0, -v1.h, -v2, -v3.h clamp wait_exp:5 ; encoding: [0x00,0xad,0x02,0xcd,0x01,0x05,0x0e,0xe4]

v_interp_p2_f16_f32 v0.l, v1.l, v2, v3
// GCN: v_interp_p2_f16_f32 v0.l, v1.l, v2, v3 wait_exp:0 ; encoding: [0x00,0x00,0x03,0xcd,0x01,0x05,0x0e,0x04]

v_interp_p2_f16_f32 v0.l, -v1.l, v2, v3
// GCN: v_interp_p2_f16_f32 v0.l, -v1.l, v2, v3 wait_exp:0 ; encoding: [0x00,0x00,0x03,0xcd,0x01,0x05,0x0e,0x24]

v_interp_p2_f16_f32 v0.l, v1.l, -v2, v3
// GCN: v_interp_p2_f16_f32 v0.l, v1.l, -v2, v3 wait_exp:0 ; encoding: [0x00,0x00,0x03,0xcd,0x01,0x05,0x0e,0x44]

v_interp_p2_f16_f32 v0.l, v1.l, v2, -v3
// GCN: v_interp_p2_f16_f32 v0.l, v1.l, v2, -v3 wait_exp:0 ; encoding: [0x00,0x00,0x03,0xcd,0x01,0x05,0x0e,0x84]

v_interp_p2_f16_f32 v0.l, v1.l, v2, v3 clamp
// GCN: v_interp_p2_f16_f32 v0.l, v1.l, v2, v3 clamp wait_exp:0 ; encoding: [0x00,0x80,0x03,0xcd,0x01,0x05,0x0e,0x04]

v_interp_p2_f16_f32 v0.l, v1.l, v2, v3 wait_exp:0
// GCN: v_interp_p2_f16_f32 v0.l, v1.l, v2, v3 wait_exp:0 ; encoding: [0x00,0x00,0x03,0xcd,0x01,0x05,0x0e,0x04]

v_interp_p2_f16_f32 v0.l, v1.l, v2, v3 wait_exp:1
// GCN: v_interp_p2_f16_f32 v0.l, v1.l, v2, v3 wait_exp:1 ; encoding: [0x00,0x01,0x03,0xcd,0x01,0x05,0x0e,0x04]
	;; [unrolled: 3-line block ×3, first 2 shown]

v_interp_p2_f16_f32 v0.l, v1.h, v2, v3
// GCN: v_interp_p2_f16_f32 v0.l, v1.h, v2, v3 wait_exp:0 ; encoding: [0x00,0x08,0x03,0xcd,0x01,0x05,0x0e,0x04]

v_interp_p2_f16_f32 v0.h, v1.l, v2, v3
// GCN: v_interp_p2_f16_f32 v0.h, v1.l, v2, v3 wait_exp:0 ; encoding: [0x00,0x40,0x03,0xcd,0x01,0x05,0x0e,0x04]

v_interp_p2_f16_f32 v0.h, v1.h, v2, v3 wait_exp:5
// GCN: v_interp_p2_f16_f32 v0.h, v1.h, v2, v3 wait_exp:5 ; encoding: [0x00,0x4d,0x03,0xcd,0x01,0x05,0x0e,0x04]

v_interp_p2_f16_f32 v0.h, v1.h, v2, v3 clamp wait_exp:5
// GCN: v_interp_p2_f16_f32 v0.h, v1.h, v2, v3 clamp wait_exp:5 ; encoding: [0x00,0xcd,0x03,0xcd,0x01,0x05,0x0e,0x04]

v_interp_p2_f16_f32 v0.h, -v1.h, -v2, -v3 clamp wait_exp:5
// GCN: v_interp_p2_f16_f32 v0.h, -v1.h, -v2, -v3 clamp wait_exp:5 ; encoding: [0x00,0xcd,0x03,0xcd,0x01,0x05,0x0e,0xe4]

v_interp_p10_rtz_f16_f32 v0, v1.l, v2, v3.l
// GCN: v_interp_p10_rtz_f16_f32 v0, v1.l, v2, v3.l wait_exp:0 ; encoding: [0x00,0x00,0x04,0xcd,0x01,0x05,0x0e,0x04]

v_interp_p10_rtz_f16_f32 v0, -v1.l, v2, v3.l
// GCN: v_interp_p10_rtz_f16_f32 v0, -v1.l, v2, v3.l wait_exp:0 ; encoding: [0x00,0x00,0x04,0xcd,0x01,0x05,0x0e,0x24]

v_interp_p10_rtz_f16_f32 v0, v1.l, -v2, v3.l
// GCN: v_interp_p10_rtz_f16_f32 v0, v1.l, -v2, v3.l wait_exp:0 ; encoding: [0x00,0x00,0x04,0xcd,0x01,0x05,0x0e,0x44]

v_interp_p10_rtz_f16_f32 v0, v1.l, v2, -v3.l
// GCN: v_interp_p10_rtz_f16_f32 v0, v1.l, v2, -v3.l wait_exp:0 ; encoding: [0x00,0x00,0x04,0xcd,0x01,0x05,0x0e,0x84]

v_interp_p10_rtz_f16_f32 v0, v1.l, v2, v3.l clamp
// GCN: v_interp_p10_rtz_f16_f32 v0, v1.l, v2, v3.l clamp wait_exp:0 ; encoding: [0x00,0x80,0x04,0xcd,0x01,0x05,0x0e,0x04]

v_interp_p10_rtz_f16_f32 v0, v1.l, v2, v3.l wait_exp:0
// GCN: v_interp_p10_rtz_f16_f32 v0, v1.l, v2, v3.l wait_exp:0 ; encoding: [0x00,0x00,0x04,0xcd,0x01,0x05,0x0e,0x04]

v_interp_p10_rtz_f16_f32 v0, v1.l, v2, v3.l wait_exp:1
// GCN: v_interp_p10_rtz_f16_f32 v0, v1.l, v2, v3.l wait_exp:1 ; encoding: [0x00,0x01,0x04,0xcd,0x01,0x05,0x0e,0x04]
	;; [unrolled: 3-line block ×3, first 2 shown]

v_interp_p10_rtz_f16_f32 v0, v1.h, v2, v3.l
// GCN: v_interp_p10_rtz_f16_f32 v0, v1.h, v2, v3.l wait_exp:0 ; encoding: [0x00,0x08,0x04,0xcd,0x01,0x05,0x0e,0x04]

v_interp_p10_rtz_f16_f32 v0, v1.l, v2, v3.h
// GCN: v_interp_p10_rtz_f16_f32 v0, v1.l, v2, v3.h wait_exp:0 ; encoding: [0x00,0x20,0x04,0xcd,0x01,0x05,0x0e,0x04]

v_interp_p10_rtz_f16_f32 v0, v1.h, v2, v3.h clamp wait_exp:5
// GCN: v_interp_p10_rtz_f16_f32 v0, v1.h, v2, v3.h clamp wait_exp:5 ; encoding: [0x00,0xad,0x04,0xcd,0x01,0x05,0x0e,0x04]

v_interp_p10_rtz_f16_f32 v0, -v1.h, -v2, -v3.h clamp wait_exp:5
// GCN: v_interp_p10_rtz_f16_f32 v0, -v1.h, -v2, -v3.h clamp wait_exp:5 ; encoding: [0x00,0xad,0x04,0xcd,0x01,0x05,0x0e,0xe4]

v_interp_p2_rtz_f16_f32 v0.l, v1.l, v2, v3
// GCN: v_interp_p2_rtz_f16_f32 v0.l, v1.l, v2, v3 wait_exp:0 ; encoding: [0x00,0x00,0x05,0xcd,0x01,0x05,0x0e,0x04]

v_interp_p2_rtz_f16_f32 v0.l, -v1.l, v2, v3
// GCN: v_interp_p2_rtz_f16_f32 v0.l, -v1.l, v2, v3 wait_exp:0 ; encoding: [0x00,0x00,0x05,0xcd,0x01,0x05,0x0e,0x24]

v_interp_p2_rtz_f16_f32 v0.l, v1.l, -v2, v3
// GCN: v_interp_p2_rtz_f16_f32 v0.l, v1.l, -v2, v3 wait_exp:0 ; encoding: [0x00,0x00,0x05,0xcd,0x01,0x05,0x0e,0x44]

v_interp_p2_rtz_f16_f32 v0.l, v1.l, v2, -v3
// GCN: v_interp_p2_rtz_f16_f32 v0.l, v1.l, v2, -v3 wait_exp:0 ; encoding: [0x00,0x00,0x05,0xcd,0x01,0x05,0x0e,0x84]

v_interp_p2_rtz_f16_f32 v0.l, v1.l, v2, v3 clamp
// GCN: v_interp_p2_rtz_f16_f32 v0.l, v1.l, v2, v3 clamp wait_exp:0 ; encoding: [0x00,0x80,0x05,0xcd,0x01,0x05,0x0e,0x04]

v_interp_p2_rtz_f16_f32 v0.l, v1.l, v2, v3 wait_exp:0
// GCN: v_interp_p2_rtz_f16_f32 v0.l, v1.l, v2, v3 wait_exp:0 ; encoding: [0x00,0x00,0x05,0xcd,0x01,0x05,0x0e,0x04]

v_interp_p2_rtz_f16_f32 v0.l, v1.l, v2, v3 wait_exp:1
// GCN: v_interp_p2_rtz_f16_f32 v0.l, v1.l, v2, v3 wait_exp:1 ; encoding: [0x00,0x01,0x05,0xcd,0x01,0x05,0x0e,0x04]
	;; [unrolled: 3-line block ×3, first 2 shown]

v_interp_p2_rtz_f16_f32 v0.l, v1.h, v2, v3
// GCN: v_interp_p2_rtz_f16_f32 v0.l, v1.h, v2, v3 wait_exp:0 ; encoding: [0x00,0x08,0x05,0xcd,0x01,0x05,0x0e,0x04]

v_interp_p2_rtz_f16_f32 v0.h, v1.l, v2, v3
// GCN: v_interp_p2_rtz_f16_f32 v0.h, v1.l, v2, v3 wait_exp:0 ; encoding: [0x00,0x40,0x05,0xcd,0x01,0x05,0x0e,0x04]

v_interp_p2_rtz_f16_f32 v0.h, v1.h, v2, v3 wait_exp:5
// GCN: v_interp_p2_rtz_f16_f32 v0.h, v1.h, v2, v3 wait_exp:5 ; encoding: [0x00,0x4d,0x05,0xcd,0x01,0x05,0x0e,0x04]

v_interp_p2_rtz_f16_f32 v0.h, v1.h, v2, v3 clamp wait_exp:5
// GCN: v_interp_p2_rtz_f16_f32 v0.h, v1.h, v2, v3 clamp wait_exp:5 ; encoding: [0x00,0xcd,0x05,0xcd,0x01,0x05,0x0e,0x04]

v_interp_p2_rtz_f16_f32 v0.h, -v1.h, -v2, -v3 clamp wait_exp:5
// GCN: v_interp_p2_rtz_f16_f32 v0.h, -v1.h, -v2, -v3 clamp wait_exp:5 ; encoding: [0x00,0xcd,0x05,0xcd,0x01,0x05,0x0e,0xe4]
